;; amdgpu-corpus repo=ROCm/rocFFT kind=compiled arch=gfx1100 opt=O3
	.text
	.amdgcn_target "amdgcn-amd-amdhsa--gfx1100"
	.amdhsa_code_object_version 6
	.protected	bluestein_single_fwd_len392_dim1_sp_op_CI_CI ; -- Begin function bluestein_single_fwd_len392_dim1_sp_op_CI_CI
	.globl	bluestein_single_fwd_len392_dim1_sp_op_CI_CI
	.p2align	8
	.type	bluestein_single_fwd_len392_dim1_sp_op_CI_CI,@function
bluestein_single_fwd_len392_dim1_sp_op_CI_CI: ; @bluestein_single_fwd_len392_dim1_sp_op_CI_CI
; %bb.0:
	s_load_b128 s[4:7], s[0:1], 0x28
	v_mul_u32_u24_e32 v1, 0x493, v0
	s_mov_b32 s2, exec_lo
	v_mov_b32_e32 v41, 0
	s_delay_alu instid0(VALU_DEP_2) | instskip(NEXT) | instid1(VALU_DEP_1)
	v_lshrrev_b32_e32 v1, 16, v1
	v_add_nc_u32_e32 v40, s15, v1
	s_waitcnt lgkmcnt(0)
	s_delay_alu instid0(VALU_DEP_1)
	v_cmpx_gt_u64_e64 s[4:5], v[40:41]
	s_cbranch_execz .LBB0_15
; %bb.1:
	s_clause 0x1
	s_load_b64 s[12:13], s[0:1], 0x0
	s_load_b64 s[4:5], s[0:1], 0x38
	v_mul_lo_u16 v1, v1, 56
	s_delay_alu instid0(VALU_DEP_1) | instskip(NEXT) | instid1(VALU_DEP_1)
	v_sub_nc_u16 v0, v0, v1
	v_and_b32_e32 v41, 0xffff, v0
	v_cmp_gt_u16_e32 vcc_lo, 49, v0
	s_delay_alu instid0(VALU_DEP_2)
	v_lshlrev_b32_e32 v42, 3, v41
	s_and_saveexec_b32 s3, vcc_lo
	s_cbranch_execz .LBB0_3
; %bb.2:
	s_load_b64 s[8:9], s[0:1], 0x18
	s_waitcnt lgkmcnt(0)
	s_load_b128 s[8:11], s[8:9], 0x0
	s_waitcnt lgkmcnt(0)
	v_mad_u64_u32 v[0:1], null, s10, v40, 0
	v_mad_u64_u32 v[2:3], null, s8, v41, 0
	s_mul_hi_u32 s10, s8, 0x188
	s_delay_alu instid0(VALU_DEP_1) | instskip(NEXT) | instid1(VALU_DEP_1)
	v_mad_u64_u32 v[4:5], null, s11, v40, v[1:2]
	v_mad_u64_u32 v[5:6], null, s9, v41, v[3:4]
	v_mov_b32_e32 v1, v4
	s_mulk_i32 s9, 0x188
	s_delay_alu instid0(SALU_CYCLE_1) | instskip(NEXT) | instid1(VALU_DEP_1)
	s_add_i32 s10, s10, s9
	v_lshlrev_b64 v[0:1], 3, v[0:1]
	s_delay_alu instid0(VALU_DEP_3)
	v_mov_b32_e32 v3, v5
	s_clause 0x5
	global_load_b64 v[4:5], v42, s[12:13]
	global_load_b64 v[6:7], v42, s[12:13] offset:392
	global_load_b64 v[8:9], v42, s[12:13] offset:784
	;; [unrolled: 1-line block ×5, first 2 shown]
	v_lshlrev_b64 v[2:3], 3, v[2:3]
	v_add_co_u32 v0, s2, s6, v0
	s_delay_alu instid0(VALU_DEP_1) | instskip(SKIP_1) | instid1(VALU_DEP_2)
	v_add_co_ci_u32_e64 v1, s2, s7, v1, s2
	s_mul_i32 s6, s8, 0x188
	v_add_co_u32 v0, s2, v0, v2
	s_delay_alu instid0(VALU_DEP_1) | instskip(NEXT) | instid1(VALU_DEP_2)
	v_add_co_ci_u32_e64 v1, s2, v1, v3, s2
	v_add_co_u32 v2, s2, v0, s6
	s_delay_alu instid0(VALU_DEP_1) | instskip(SKIP_2) | instid1(VALU_DEP_1)
	v_add_co_ci_u32_e64 v3, s2, s10, v1, s2
	global_load_b64 v[0:1], v[0:1], off
	v_add_co_u32 v16, s2, v2, s6
	v_add_co_ci_u32_e64 v17, s2, s10, v3, s2
	global_load_b64 v[2:3], v[2:3], off
	v_add_co_u32 v18, s2, v16, s6
	s_delay_alu instid0(VALU_DEP_1) | instskip(NEXT) | instid1(VALU_DEP_2)
	v_add_co_ci_u32_e64 v19, s2, s10, v17, s2
	v_add_co_u32 v20, s2, v18, s6
	s_delay_alu instid0(VALU_DEP_1) | instskip(SKIP_4) | instid1(VALU_DEP_1)
	v_add_co_ci_u32_e64 v21, s2, s10, v19, s2
	s_clause 0x1
	global_load_b64 v[16:17], v[16:17], off
	global_load_b64 v[18:19], v[18:19], off
	v_add_co_u32 v22, s2, v20, s6
	v_add_co_ci_u32_e64 v23, s2, s10, v21, s2
	global_load_b64 v[20:21], v[20:21], off
	v_add_co_u32 v24, s2, v22, s6
	s_delay_alu instid0(VALU_DEP_1) | instskip(SKIP_2) | instid1(VALU_DEP_1)
	v_add_co_ci_u32_e64 v25, s2, s10, v23, s2
	global_load_b64 v[22:23], v[22:23], off
	v_add_co_u32 v26, s2, v24, s6
	v_add_co_ci_u32_e64 v27, s2, s10, v25, s2
	global_load_b64 v[24:25], v[24:25], off
	s_clause 0x1
	global_load_b64 v[28:29], v42, s[12:13] offset:2352
	global_load_b64 v[30:31], v42, s[12:13] offset:2744
	global_load_b64 v[26:27], v[26:27], off
	s_waitcnt vmcnt(9)
	v_mul_f32_e32 v32, v1, v5
	v_mul_f32_e32 v33, v0, v5
	s_delay_alu instid0(VALU_DEP_2) | instskip(SKIP_3) | instid1(VALU_DEP_2)
	v_fmac_f32_e32 v32, v0, v4
	s_waitcnt vmcnt(8)
	v_mul_f32_e32 v0, v3, v7
	v_mul_f32_e32 v7, v2, v7
	v_fmac_f32_e32 v0, v2, v6
	v_fma_f32 v33, v1, v4, -v33
	s_delay_alu instid0(VALU_DEP_3) | instskip(SKIP_3) | instid1(VALU_DEP_2)
	v_fma_f32 v1, v3, v6, -v7
	s_waitcnt vmcnt(6)
	v_dual_mul_f32 v4, v16, v9 :: v_dual_mul_f32 v3, v18, v11
	v_dual_mul_f32 v5, v17, v9 :: v_dual_mul_f32 v2, v19, v11
	v_fma_f32 v6, v17, v8, -v4
	s_waitcnt vmcnt(5)
	v_mul_f32_e32 v4, v20, v13
	v_mul_f32_e32 v7, v21, v13
	v_dual_fmac_f32 v5, v16, v8 :: v_dual_fmac_f32 v2, v18, v10
	v_fma_f32 v3, v19, v10, -v3
	s_waitcnt vmcnt(4)
	v_mul_f32_e32 v9, v23, v15
	v_fma_f32 v8, v21, v12, -v4
	v_dual_mul_f32 v4, v22, v15 :: v_dual_fmac_f32 v7, v20, v12
	s_waitcnt vmcnt(2)
	v_mul_f32_e32 v11, v25, v29
	v_dual_fmac_f32 v9, v22, v14 :: v_dual_mul_f32 v12, v24, v29
	s_waitcnt vmcnt(0)
	v_mul_f32_e32 v13, v27, v31
	v_mul_f32_e32 v15, v26, v31
	v_fma_f32 v10, v23, v14, -v4
	v_fmac_f32_e32 v11, v24, v28
	v_fma_f32 v12, v25, v28, -v12
	v_fmac_f32_e32 v13, v26, v30
	v_fma_f32 v14, v27, v30, -v15
	v_add_nc_u32_e32 v4, 0x800, v42
	ds_store_2addr_b64 v42, v[32:33], v[0:1] offset1:49
	ds_store_2addr_b64 v42, v[5:6], v[2:3] offset0:98 offset1:147
	ds_store_2addr_b64 v42, v[7:8], v[9:10] offset0:196 offset1:245
	;; [unrolled: 1-line block ×3, first 2 shown]
.LBB0_3:
	s_or_b32 exec_lo, exec_lo, s3
	s_clause 0x1
	s_load_b64 s[2:3], s[0:1], 0x20
	s_load_b64 s[6:7], s[0:1], 0x8
	s_waitcnt lgkmcnt(0)
	s_barrier
	buffer_gl0_inv
                                        ; implicit-def: $vgpr10
                                        ; implicit-def: $vgpr14
                                        ; implicit-def: $vgpr2
                                        ; implicit-def: $vgpr6
	s_and_saveexec_b32 s0, vcc_lo
	s_cbranch_execz .LBB0_5
; %bb.4:
	v_add_nc_u32_e32 v8, 0x800, v42
	ds_load_2addr_b64 v[4:7], v42 offset1:49
	ds_load_2addr_b64 v[0:3], v42 offset0:98 offset1:147
	ds_load_2addr_b64 v[12:15], v42 offset0:196 offset1:245
	;; [unrolled: 1-line block ×3, first 2 shown]
.LBB0_5:
	s_or_b32 exec_lo, exec_lo, s0
	s_waitcnt lgkmcnt(1)
	v_dual_sub_f32 v12, v4, v12 :: v_dual_sub_f32 v17, v7, v15
	s_waitcnt lgkmcnt(0)
	v_dual_sub_f32 v16, v5, v13 :: v_dual_sub_f32 v13, v0, v8
	v_dual_sub_f32 v20, v1, v9 :: v_dual_sub_f32 v21, v2, v10
	v_sub_f32_e32 v8, v6, v14
	s_delay_alu instid0(VALU_DEP_3) | instskip(NEXT) | instid1(VALU_DEP_3)
	v_dual_sub_f32 v18, v3, v11 :: v_dual_add_f32 v11, v13, v16
	v_sub_f32_e32 v9, v12, v20
	s_delay_alu instid0(VALU_DEP_4) | instskip(SKIP_1) | instid1(VALU_DEP_4)
	v_add_f32_e32 v19, v21, v17
	v_lshlrev_b16 v43, 3, v41
	v_sub_f32_e32 v10, v8, v18
	s_barrier
	s_delay_alu instid0(VALU_DEP_3) | instskip(SKIP_3) | instid1(VALU_DEP_2)
	v_fmamk_f32 v15, v19, 0x3f3504f3, v11
	buffer_gl0_inv
	v_fmamk_f32 v14, v10, 0x3f3504f3, v9
	v_fmac_f32_e32 v15, 0x3f3504f3, v10
	v_fmac_f32_e32 v14, 0xbf3504f3, v19
	s_and_saveexec_b32 s0, vcc_lo
	s_cbranch_execz .LBB0_7
; %bb.6:
	v_fma_f32 v22, v5, 2.0, -v16
	v_fma_f32 v1, v1, 2.0, -v20
	v_fma_f32 v20, v6, 2.0, -v8
	v_fma_f32 v2, v2, 2.0, -v21
	v_fma_f32 v21, v4, 2.0, -v12
	v_fma_f32 v0, v0, 2.0, -v13
	v_sub_f32_e32 v1, v22, v1
	v_fma_f32 v7, v7, 2.0, -v17
	v_sub_f32_e32 v2, v20, v2
	v_fma_f32 v3, v3, 2.0, -v18
	v_fma_f32 v6, v11, 2.0, -v15
	;; [unrolled: 1-line block ×4, first 2 shown]
	v_dual_add_f32 v13, v2, v1 :: v_dual_sub_f32 v0, v21, v0
	v_fma_f32 v8, v8, 2.0, -v10
	v_fma_f32 v17, v12, 2.0, -v9
	s_delay_alu instid0(VALU_DEP_4) | instskip(SKIP_3) | instid1(VALU_DEP_4)
	v_dual_sub_f32 v3, v7, v3 :: v_dual_fmamk_f32 v10, v16, 0xbf3504f3, v11
	v_fma_f32 v5, v9, 2.0, -v14
	v_fma_f32 v4, v1, 2.0, -v13
	;; [unrolled: 1-line block ×4, first 2 shown]
	v_fmamk_f32 v9, v8, 0xbf3504f3, v17
	v_fma_f32 v21, v21, 2.0, -v0
	v_fma_f32 v2, v20, 2.0, -v2
	v_fmac_f32_e32 v10, 0x3f3504f3, v8
	v_sub_f32_e32 v8, v1, v7
	v_dual_sub_f32 v12, v0, v3 :: v_dual_fmac_f32 v9, 0xbf3504f3, v16
	s_delay_alu instid0(VALU_DEP_4) | instskip(NEXT) | instid1(VALU_DEP_4)
	v_dual_sub_f32 v7, v21, v2 :: v_dual_and_b32 v2, 0xffff, v43
	v_fma_f32 v19, v11, 2.0, -v10
	s_delay_alu instid0(VALU_DEP_3) | instskip(NEXT) | instid1(VALU_DEP_4)
	v_fma_f32 v3, v0, 2.0, -v12
	v_fma_f32 v18, v17, 2.0, -v9
	;; [unrolled: 1-line block ×4, first 2 shown]
	v_lshlrev_b32_e32 v1, 3, v2
	ds_store_b128 v1, v[16:19]
	ds_store_b128 v1, v[3:6] offset:16
	ds_store_b128 v1, v[7:10] offset:32
	ds_store_b128 v1, v[12:15] offset:48
.LBB0_7:
	s_or_b32 exec_lo, exec_lo, s0
	v_and_b32_e32 v28, 7, v41
	s_load_b128 s[0:3], s[2:3], 0x0
	s_waitcnt lgkmcnt(0)
	s_barrier
	buffer_gl0_inv
	v_mul_u32_u24_e32 v0, 6, v28
	v_lshrrev_b32_e32 v12, 3, v41
	s_delay_alu instid0(VALU_DEP_2) | instskip(NEXT) | instid1(VALU_DEP_2)
	v_lshlrev_b32_e32 v0, 3, v0
	v_mul_u32_u24_e32 v29, 56, v12
	s_clause 0x2
	global_load_b128 v[8:11], v0, s[6:7]
	global_load_b128 v[4:7], v0, s[6:7] offset:16
	global_load_b128 v[0:3], v0, s[6:7] offset:32
	ds_load_2addr_b64 v[20:23], v42 offset0:112 offset1:168
	ds_load_2addr_b64 v[16:19], v42 offset1:56
	v_add_nc_u32_e32 v45, 0x400, v42
	ds_load_b64 v[12:13], v42 offset:2688
	s_waitcnt vmcnt(2) lgkmcnt(2)
	v_mul_f32_e32 v33, v20, v11
	v_or_b32_e32 v30, v29, v28
	s_waitcnt lgkmcnt(1)
	v_mul_f32_e32 v31, v18, v9
	v_mad_u64_u32 v[28:29], null, v41, 48, s[6:7]
	s_waitcnt vmcnt(1)
	v_dual_mul_f32 v35, v22, v5 :: v_dual_lshlrev_b32 v44, 3, v30
	v_mul_f32_e32 v30, v19, v9
	ds_load_2addr_b64 v[24:27], v45 offset0:96 offset1:152
	v_mul_f32_e32 v32, v21, v11
	v_mul_f32_e32 v34, v23, v5
	s_waitcnt vmcnt(0) lgkmcnt(1)
	v_dual_mul_f32 v46, v13, v3 :: v_dual_fmac_f32 v35, v23, v4
	v_fma_f32 v18, v18, v8, -v30
	s_waitcnt lgkmcnt(0)
	s_barrier
	buffer_gl0_inv
	v_mul_f32_e32 v47, v12, v3
	v_fmac_f32_e32 v31, v19, v8
	v_fma_f32 v12, v12, v2, -v46
	v_fmac_f32_e32 v33, v21, v10
	s_delay_alu instid0(VALU_DEP_4)
	v_fmac_f32_e32 v47, v13, v2
	v_mul_f32_e32 v36, v25, v7
	v_dual_mul_f32 v37, v24, v7 :: v_dual_mul_f32 v38, v27, v1
	v_mul_f32_e32 v39, v26, v1
	v_fma_f32 v19, v20, v10, -v32
	v_fma_f32 v20, v22, v4, -v34
	;; [unrolled: 1-line block ×3, first 2 shown]
	v_fmac_f32_e32 v37, v25, v6
	v_fma_f32 v13, v26, v0, -v38
	v_fmac_f32_e32 v39, v27, v0
	v_add_f32_e32 v22, v18, v12
	v_add_f32_e32 v26, v20, v21
	v_dual_sub_f32 v12, v18, v12 :: v_dual_add_f32 v23, v31, v47
	v_sub_f32_e32 v20, v21, v20
	v_sub_f32_e32 v18, v31, v47
	v_dual_add_f32 v24, v19, v13 :: v_dual_add_f32 v25, v33, v39
	v_sub_f32_e32 v13, v19, v13
	v_sub_f32_e32 v19, v33, v39
	;; [unrolled: 1-line block ×3, first 2 shown]
	s_delay_alu instid0(VALU_DEP_4) | instskip(NEXT) | instid1(VALU_DEP_4)
	v_dual_add_f32 v27, v35, v37 :: v_dual_add_f32 v30, v24, v22
	v_dual_add_f32 v31, v25, v23 :: v_dual_add_f32 v34, v20, v13
	v_dual_sub_f32 v32, v24, v22 :: v_dual_sub_f32 v33, v25, v23
	v_sub_f32_e32 v36, v20, v13
	v_sub_f32_e32 v22, v22, v26
	v_dual_sub_f32 v24, v26, v24 :: v_dual_add_f32 v35, v21, v19
	v_dual_add_f32 v26, v26, v30 :: v_dual_sub_f32 v37, v21, v19
	v_dual_add_f32 v30, v34, v12 :: v_dual_sub_f32 v23, v23, v27
	v_dual_sub_f32 v20, v12, v20 :: v_dual_sub_f32 v25, v27, v25
	v_dual_sub_f32 v38, v13, v12 :: v_dual_sub_f32 v21, v18, v21
	v_sub_f32_e32 v19, v19, v18
	v_dual_add_f32 v27, v27, v31 :: v_dual_mul_f32 v22, 0x3f4a47b2, v22
	v_dual_add_f32 v18, v35, v18 :: v_dual_mul_f32 v31, 0x3d64c772, v24
	v_dual_mul_f32 v35, 0xbf08b237, v36 :: v_dual_mul_f32 v36, 0xbf08b237, v37
	v_dual_mul_f32 v23, 0x3f4a47b2, v23 :: v_dual_add_f32 v12, v16, v26
	v_mul_f32_e32 v34, 0x3d64c772, v25
	v_fmamk_f32 v16, v24, 0x3d64c772, v22
	v_fma_f32 v24, 0x3f3bfb3b, v32, -v31
	v_fma_f32 v22, 0xbf3bfb3b, v32, -v22
	v_dual_fmamk_f32 v31, v20, 0x3eae86e6, v35 :: v_dual_fmamk_f32 v32, v21, 0x3eae86e6, v36
	v_add_f32_e32 v13, v17, v27
	v_fmamk_f32 v17, v25, 0x3d64c772, v23
	v_fma_f32 v25, 0x3f3bfb3b, v33, -v34
	v_fma_f32 v34, 0x3f5ff5aa, v19, -v36
	v_fmac_f32_e32 v32, 0x3ee1c552, v18
	v_mul_f32_e32 v39, 0x3f5ff5aa, v19
	v_fmamk_f32 v19, v26, 0xbf955555, v12
	v_mul_f32_e32 v37, 0x3f5ff5aa, v38
	v_fma_f32 v23, 0xbf3bfb3b, v33, -v23
	v_fma_f32 v33, 0x3f5ff5aa, v38, -v35
	s_delay_alu instid0(VALU_DEP_4) | instskip(NEXT) | instid1(VALU_DEP_4)
	v_add_f32_e32 v26, v16, v19
	v_fma_f32 v35, 0xbeae86e6, v20, -v37
	v_fmamk_f32 v20, v27, 0xbf955555, v13
	v_dual_fmac_f32 v31, 0x3ee1c552, v30 :: v_dual_add_f32 v24, v24, v19
	s_delay_alu instid0(VALU_DEP_4) | instskip(SKIP_1) | instid1(VALU_DEP_4)
	v_add_f32_e32 v16, v32, v26
	v_fma_f32 v36, 0xbeae86e6, v21, -v39
	v_dual_fmac_f32 v34, 0x3ee1c552, v18 :: v_dual_add_f32 v27, v17, v20
	v_fmac_f32_e32 v33, 0x3ee1c552, v30
	s_delay_alu instid0(VALU_DEP_3) | instskip(SKIP_4) | instid1(VALU_DEP_3)
	v_dual_add_f32 v37, v23, v20 :: v_dual_fmac_f32 v36, 0x3ee1c552, v18
	v_dual_fmac_f32 v35, 0x3ee1c552, v30 :: v_dual_add_f32 v30, v22, v19
	v_add_f32_e32 v23, v25, v20
	v_dual_sub_f32 v17, v27, v31 :: v_dual_sub_f32 v20, v24, v34
	v_add_f32_e32 v22, v34, v24
	v_dual_add_f32 v18, v36, v30 :: v_dual_add_f32 v21, v33, v23
	v_dual_sub_f32 v24, v30, v36 :: v_dual_sub_f32 v19, v37, v35
	v_dual_sub_f32 v26, v26, v32 :: v_dual_sub_f32 v23, v23, v33
	v_add_f32_e32 v25, v35, v37
	v_add_f32_e32 v27, v31, v27
	ds_store_2addr_b64 v44, v[12:13], v[16:17] offset1:8
	ds_store_2addr_b64 v44, v[18:19], v[20:21] offset0:16 offset1:24
	ds_store_2addr_b64 v44, v[22:23], v[24:25] offset0:32 offset1:40
	ds_store_b64 v44, v[26:27] offset:384
	s_waitcnt lgkmcnt(0)
	s_barrier
	buffer_gl0_inv
	s_clause 0x2
	global_load_b128 v[24:27], v[28:29], off offset:384
	global_load_b128 v[20:23], v[28:29], off offset:400
	;; [unrolled: 1-line block ×3, first 2 shown]
	ds_load_2addr_b64 v[28:31], v42 offset1:56
	ds_load_2addr_b64 v[32:35], v42 offset0:112 offset1:168
	ds_load_2addr_b64 v[36:39], v45 offset0:96 offset1:152
	ds_load_b64 v[12:13], v42 offset:2688
	s_waitcnt vmcnt(2) lgkmcnt(3)
	v_mul_f32_e32 v46, v31, v25
	s_waitcnt vmcnt(0) lgkmcnt(0)
	v_dual_mul_f32 v47, v30, v25 :: v_dual_mul_f32 v56, v13, v19
	v_mul_f32_e32 v48, v33, v27
	v_dual_mul_f32 v49, v32, v27 :: v_dual_mul_f32 v50, v35, v21
	v_mul_f32_e32 v52, v37, v23
	v_dual_mul_f32 v53, v36, v23 :: v_dual_mul_f32 v54, v39, v17
	v_fma_f32 v30, v30, v24, -v46
	v_mul_f32_e32 v57, v12, v19
	v_fma_f32 v12, v12, v18, -v56
	v_fmac_f32_e32 v49, v33, v26
	v_fma_f32 v33, v36, v22, -v52
	v_fmac_f32_e32 v47, v31, v24
	v_fma_f32 v31, v32, v26, -v48
	v_fma_f32 v32, v34, v20, -v50
	v_mul_f32_e32 v51, v34, v21
	v_add_f32_e32 v34, v30, v12
	v_dual_sub_f32 v12, v30, v12 :: v_dual_fmac_f32 v57, v13, v18
	v_fma_f32 v13, v38, v16, -v54
	s_delay_alu instid0(VALU_DEP_1) | instskip(SKIP_3) | instid1(VALU_DEP_4)
	v_add_f32_e32 v36, v31, v13
	v_mul_f32_e32 v55, v38, v17
	v_dual_add_f32 v38, v32, v33 :: v_dual_fmac_f32 v53, v37, v22
	v_sub_f32_e32 v32, v33, v32
	v_dual_fmac_f32 v51, v35, v20 :: v_dual_sub_f32 v48, v36, v34
	s_delay_alu instid0(VALU_DEP_4) | instskip(NEXT) | instid1(VALU_DEP_4)
	v_dual_add_f32 v46, v36, v34 :: v_dual_fmac_f32 v55, v39, v16
	v_dual_sub_f32 v34, v34, v38 :: v_dual_sub_f32 v13, v31, v13
	v_add_f32_e32 v35, v47, v57
	v_sub_f32_e32 v30, v47, v57
	v_dual_sub_f32 v36, v38, v36 :: v_dual_sub_f32 v33, v53, v51
	v_dual_add_f32 v38, v38, v46 :: v_dual_add_f32 v37, v49, v55
	v_dual_add_f32 v50, v32, v13 :: v_dual_sub_f32 v31, v49, v55
	v_sub_f32_e32 v52, v32, v13
	v_dual_add_f32 v39, v51, v53 :: v_dual_sub_f32 v32, v12, v32
	s_delay_alu instid0(VALU_DEP_4)
	v_dual_add_f32 v47, v37, v35 :: v_dual_mul_f32 v34, 0x3f4a47b2, v34
	v_dual_sub_f32 v49, v37, v35 :: v_dual_mul_f32 v46, 0x3d64c772, v36
	v_sub_f32_e32 v53, v33, v31
	v_sub_f32_e32 v13, v13, v12
	v_dual_add_f32 v51, v33, v31 :: v_dual_add_f32 v12, v50, v12
	v_dual_sub_f32 v35, v35, v39 :: v_dual_mul_f32 v50, 0xbf08b237, v52
	v_dual_sub_f32 v37, v39, v37 :: v_dual_add_f32 v28, v28, v38
	v_sub_f32_e32 v33, v30, v33
	v_mul_f32_e32 v52, 0x3f5ff5aa, v13
	v_fmamk_f32 v36, v36, 0x3d64c772, v34
	v_fma_f32 v46, 0x3f3bfb3b, v48, -v46
	v_fma_f32 v34, 0xbf3bfb3b, v48, -v34
	v_dual_fmamk_f32 v48, v32, 0x3eae86e6, v50 :: v_dual_sub_f32 v31, v31, v30
	v_dual_add_f32 v30, v51, v30 :: v_dual_mul_f32 v51, 0xbf08b237, v53
	v_mul_f32_e32 v35, 0x3f4a47b2, v35
	v_fma_f32 v13, 0x3f5ff5aa, v13, -v50
	s_delay_alu instid0(VALU_DEP_4)
	v_fmac_f32_e32 v48, 0x3ee1c552, v12
	v_mul_f32_e32 v53, 0x3f5ff5aa, v31
	v_fma_f32 v50, 0x3f5ff5aa, v31, -v51
	v_add_f32_e32 v39, v39, v47
	v_fmamk_f32 v31, v38, 0xbf955555, v28
	v_mul_f32_e32 v47, 0x3d64c772, v37
	v_fmamk_f32 v37, v37, 0x3d64c772, v35
	v_fma_f32 v35, 0xbf3bfb3b, v49, -v35
	v_fmac_f32_e32 v50, 0x3ee1c552, v30
	v_add_f32_e32 v38, v34, v31
	v_fma_f32 v47, 0x3f3bfb3b, v49, -v47
	v_fmamk_f32 v49, v33, 0x3eae86e6, v51
	v_fma_f32 v51, 0xbeae86e6, v32, -v52
	v_fma_f32 v52, 0xbeae86e6, v33, -v53
	v_add_f32_e32 v29, v29, v39
	v_fmac_f32_e32 v13, 0x3ee1c552, v12
	s_delay_alu instid0(VALU_DEP_3) | instskip(NEXT) | instid1(VALU_DEP_3)
	v_dual_fmac_f32 v51, 0x3ee1c552, v12 :: v_dual_fmac_f32 v52, 0x3ee1c552, v30
	v_fmamk_f32 v32, v39, 0xbf955555, v29
	v_add_f32_e32 v12, v36, v31
	s_delay_alu instid0(VALU_DEP_2) | instskip(SKIP_1) | instid1(VALU_DEP_2)
	v_dual_add_f32 v36, v46, v31 :: v_dual_add_f32 v53, v37, v32
	v_add_f32_e32 v39, v35, v32
	v_dual_add_f32 v37, v47, v32 :: v_dual_sub_f32 v34, v36, v50
	v_dual_fmac_f32 v49, 0x3ee1c552, v30 :: v_dual_add_f32 v36, v50, v36
	s_delay_alu instid0(VALU_DEP_4) | instskip(NEXT) | instid1(VALU_DEP_4)
	v_dual_sub_f32 v31, v53, v48 :: v_dual_add_f32 v32, v52, v38
	v_dual_sub_f32 v33, v39, v51 :: v_dual_sub_f32 v38, v38, v52
	s_delay_alu instid0(VALU_DEP_3)
	v_add_f32_e32 v30, v49, v12
	v_add_f32_e32 v35, v13, v37
	v_sub_f32_e32 v37, v37, v13
	v_dual_add_f32 v39, v51, v39 :: v_dual_sub_f32 v12, v12, v49
	v_add_f32_e32 v13, v48, v53
	ds_store_2addr_b64 v42, v[28:29], v[30:31] offset1:56
	ds_store_2addr_b64 v42, v[32:33], v[34:35] offset0:112 offset1:168
	ds_store_2addr_b64 v45, v[36:37], v[38:39] offset0:96 offset1:152
	ds_store_b64 v42, v[12:13] offset:2688
	s_waitcnt lgkmcnt(0)
	s_barrier
	buffer_gl0_inv
	s_and_saveexec_b32 s6, vcc_lo
	s_cbranch_execz .LBB0_9
; %bb.8:
	s_add_u32 s8, s12, 0xc40
	s_addc_u32 s9, s13, 0
	s_clause 0x7
	global_load_b64 v[49:50], v42, s[12:13] offset:3136
	global_load_b64 v[51:52], v42, s[8:9] offset:392
	;; [unrolled: 1-line block ×8, first 2 shown]
	ds_load_2addr_b64 v[45:48], v42 offset1:49
	s_waitcnt vmcnt(6) lgkmcnt(0)
	v_dual_mul_f32 v54, v46, v50 :: v_dual_mul_f32 v55, v48, v52
	v_dual_mul_f32 v53, v45, v50 :: v_dual_mul_f32 v50, v47, v52
	s_delay_alu instid0(VALU_DEP_2) | instskip(NEXT) | instid1(VALU_DEP_2)
	v_fma_f32 v52, v45, v49, -v54
	v_dual_fmac_f32 v53, v46, v49 :: v_dual_fmac_f32 v50, v48, v51
	s_delay_alu instid0(VALU_DEP_4)
	v_fma_f32 v49, v47, v51, -v55
	ds_store_2addr_b64 v42, v[52:53], v[49:50] offset1:49
	ds_load_2addr_b64 v[45:48], v42 offset0:98 offset1:147
	s_waitcnt vmcnt(5) lgkmcnt(0)
	v_mul_f32_e32 v69, v45, v58
	s_waitcnt vmcnt(4)
	v_dual_mul_f32 v71, v46, v58 :: v_dual_mul_f32 v72, v48, v60
	v_mul_f32_e32 v58, v47, v60
	s_delay_alu instid0(VALU_DEP_3)
	v_dual_fmac_f32 v69, v46, v57 :: v_dual_add_nc_u32 v70, 0x800, v42
	ds_load_2addr_b64 v[49:52], v42 offset0:196 offset1:245
	ds_load_2addr_b64 v[53:56], v70 offset0:38 offset1:87
	s_waitcnt vmcnt(3) lgkmcnt(1)
	v_dual_fmac_f32 v58, v48, v59 :: v_dual_mul_f32 v73, v50, v62
	s_waitcnt vmcnt(2)
	v_mul_f32_e32 v74, v52, v64
	v_mul_f32_e32 v60, v49, v62
	s_waitcnt vmcnt(1) lgkmcnt(0)
	v_dual_mul_f32 v62, v51, v64 :: v_dual_mul_f32 v75, v54, v66
	v_mul_f32_e32 v64, v53, v66
	s_waitcnt vmcnt(0)
	v_mul_f32_e32 v76, v56, v68
	v_mul_f32_e32 v66, v55, v68
	v_fma_f32 v68, v45, v57, -v71
	v_fma_f32 v57, v47, v59, -v72
	;; [unrolled: 1-line block ×3, first 2 shown]
	v_fmac_f32_e32 v60, v50, v61
	v_fma_f32 v61, v51, v63, -v74
	v_fmac_f32_e32 v62, v52, v63
	v_fma_f32 v63, v53, v65, -v75
	;; [unrolled: 2-line block ×3, first 2 shown]
	v_fmac_f32_e32 v66, v56, v67
	ds_store_2addr_b64 v42, v[68:69], v[57:58] offset0:98 offset1:147
	ds_store_2addr_b64 v42, v[59:60], v[61:62] offset0:196 offset1:245
	;; [unrolled: 1-line block ×3, first 2 shown]
.LBB0_9:
	s_or_b32 exec_lo, exec_lo, s6
	s_waitcnt lgkmcnt(0)
	s_barrier
	buffer_gl0_inv
	s_and_saveexec_b32 s6, vcc_lo
	s_cbranch_execz .LBB0_11
; %bb.10:
	v_add_nc_u32_e32 v12, 0x800, v42
	ds_load_2addr_b64 v[28:31], v42 offset1:49
	ds_load_2addr_b64 v[32:35], v42 offset0:98 offset1:147
	ds_load_2addr_b64 v[36:39], v42 offset0:196 offset1:245
	;; [unrolled: 1-line block ×3, first 2 shown]
.LBB0_11:
	s_or_b32 exec_lo, exec_lo, s6
	s_waitcnt lgkmcnt(0)
	s_barrier
	buffer_gl0_inv
	s_and_saveexec_b32 s6, vcc_lo
	s_cbranch_execz .LBB0_13
; %bb.12:
	v_dual_sub_f32 v37, v29, v37 :: v_dual_sub_f32 v12, v32, v12
	v_dual_sub_f32 v39, v31, v39 :: v_dual_sub_f32 v38, v30, v38
	;; [unrolled: 1-line block ×4, first 2 shown]
	s_delay_alu instid0(VALU_DEP_2) | instskip(NEXT) | instid1(VALU_DEP_3)
	v_dual_sub_f32 v47, v37, v12 :: v_dual_sub_f32 v48, v39, v45
	v_add_f32_e32 v49, v46, v38
	v_fma_f32 v29, v29, 2.0, -v37
	s_delay_alu instid0(VALU_DEP_4)
	v_add_f32_e32 v50, v13, v36
	v_fma_f32 v13, v33, 2.0, -v13
	v_fmamk_f32 v15, v48, 0x3f3504f3, v47
	v_fma_f32 v30, v30, 2.0, -v38
	v_fma_f32 v33, v34, 2.0, -v45
	v_fmamk_f32 v14, v49, 0x3f3504f3, v50
	v_fma_f32 v28, v28, 2.0, -v36
	v_fma_f32 v12, v32, 2.0, -v12
	v_fmac_f32_e32 v15, 0xbf3504f3, v49
	v_fma_f32 v31, v31, 2.0, -v39
	v_dual_fmac_f32 v14, 0x3f3504f3, v48 :: v_dual_sub_f32 v45, v29, v13
	v_fma_f32 v35, v35, 2.0, -v46
	s_delay_alu instid0(VALU_DEP_4)
	v_fma_f32 v34, v47, 2.0, -v15
	v_fma_f32 v46, v37, 2.0, -v47
	;; [unrolled: 1-line block ×3, first 2 shown]
	v_sub_f32_e32 v51, v30, v33
	v_fma_f32 v33, v50, 2.0, -v14
	v_fma_f32 v47, v38, 2.0, -v49
	;; [unrolled: 1-line block ×3, first 2 shown]
	v_fmamk_f32 v38, v39, 0xbf3504f3, v46
	v_dual_sub_f32 v35, v31, v35 :: v_dual_sub_f32 v50, v28, v12
	v_fma_f32 v29, v29, 2.0, -v45
	s_delay_alu instid0(VALU_DEP_3) | instskip(NEXT) | instid1(VALU_DEP_3)
	v_dual_fmamk_f32 v37, v47, 0xbf3504f3, v49 :: v_dual_fmac_f32 v38, 0xbf3504f3, v47
	v_fma_f32 v31, v31, 2.0, -v35
	s_delay_alu instid0(VALU_DEP_4) | instskip(SKIP_3) | instid1(VALU_DEP_3)
	v_fma_f32 v28, v28, 2.0, -v50
	v_fma_f32 v30, v30, 2.0, -v51
	v_dual_sub_f32 v13, v45, v51 :: v_dual_add_f32 v12, v35, v50
	v_fmac_f32_e32 v37, 0x3f3504f3, v39
	v_dual_sub_f32 v36, v29, v31 :: v_dual_sub_f32 v35, v28, v30
	v_and_b32_e32 v30, 0xffff, v43
	s_delay_alu instid0(VALU_DEP_4)
	v_fma_f32 v32, v45, 2.0, -v13
	v_fma_f32 v48, v46, 2.0, -v38
	;; [unrolled: 1-line block ×5, first 2 shown]
	v_lshlrev_b32_e32 v28, 3, v30
	v_fma_f32 v31, v50, 2.0, -v12
	ds_store_b128 v28, v[45:48]
	ds_store_b128 v28, v[31:34] offset:16
	ds_store_b128 v28, v[35:38] offset:32
	;; [unrolled: 1-line block ×3, first 2 shown]
.LBB0_13:
	s_or_b32 exec_lo, exec_lo, s6
	s_waitcnt lgkmcnt(0)
	s_barrier
	buffer_gl0_inv
	ds_load_2addr_b64 v[28:31], v42 offset1:56
	ds_load_2addr_b64 v[32:35], v42 offset0:112 offset1:168
	ds_load_b64 v[13:14], v42 offset:2688
	s_waitcnt lgkmcnt(2)
	v_dual_mul_f32 v15, v9, v31 :: v_dual_add_nc_u32 v12, 0x400, v42
	ds_load_2addr_b64 v[36:39], v12 offset0:96 offset1:152
	s_waitcnt lgkmcnt(1)
	v_dual_mul_f32 v45, v5, v35 :: v_dual_mul_f32 v46, v3, v14
	v_mul_f32_e32 v9, v9, v30
	v_mul_f32_e32 v43, v11, v33
	;; [unrolled: 1-line block ×3, first 2 shown]
	s_delay_alu instid0(VALU_DEP_4) | instskip(NEXT) | instid1(VALU_DEP_4)
	v_dual_fmac_f32 v15, v8, v30 :: v_dual_fmac_f32 v46, v2, v13
	v_fma_f32 v8, v8, v31, -v9
	v_mul_f32_e32 v3, v3, v13
	s_delay_alu instid0(VALU_DEP_4)
	v_fma_f32 v9, v10, v33, -v11
	v_fmac_f32_e32 v45, v4, v34
	s_waitcnt lgkmcnt(0)
	s_barrier
	v_fma_f32 v2, v2, v14, -v3
	v_fmac_f32_e32 v43, v10, v32
	buffer_gl0_inv
	v_mul_f32_e32 v10, v1, v39
	v_mul_f32_e32 v1, v1, v38
	s_delay_alu instid0(VALU_DEP_2) | instskip(NEXT) | instid1(VALU_DEP_2)
	v_fmac_f32_e32 v10, v0, v38
	v_fma_f32 v0, v0, v39, -v1
	s_delay_alu instid0(VALU_DEP_1) | instskip(SKIP_2) | instid1(VALU_DEP_1)
	v_add_f32_e32 v11, v9, v0
	v_dual_sub_f32 v0, v9, v0 :: v_dual_add_f32 v1, v15, v46
	v_mul_f32_e32 v5, v5, v34
	v_fma_f32 v4, v4, v35, -v5
	v_mul_f32_e32 v5, v7, v37
	v_mul_f32_e32 v7, v7, v36
	s_delay_alu instid0(VALU_DEP_2) | instskip(NEXT) | instid1(VALU_DEP_2)
	v_fmac_f32_e32 v5, v6, v36
	v_fma_f32 v3, v6, v37, -v7
	v_add_f32_e32 v6, v8, v2
	v_sub_f32_e32 v2, v8, v2
	v_add_f32_e32 v8, v43, v10
	s_delay_alu instid0(VALU_DEP_4) | instskip(NEXT) | instid1(VALU_DEP_4)
	v_dual_sub_f32 v10, v43, v10 :: v_dual_add_f32 v13, v4, v3
	v_add_f32_e32 v14, v11, v6
	v_sub_f32_e32 v3, v3, v4
	v_sub_f32_e32 v30, v11, v6
	v_add_f32_e32 v4, v8, v1
	v_sub_f32_e32 v6, v6, v13
	s_delay_alu instid0(VALU_DEP_4) | instskip(SKIP_1) | instid1(VALU_DEP_3)
	v_dual_add_f32 v9, v45, v5 :: v_dual_sub_f32 v34, v3, v0
	v_sub_f32_e32 v7, v15, v46
	v_dual_sub_f32 v15, v8, v1 :: v_dual_mul_f32 v6, 0x3f4a47b2, v6
	s_delay_alu instid0(VALU_DEP_3) | instskip(SKIP_3) | instid1(VALU_DEP_4)
	v_sub_f32_e32 v31, v1, v9
	v_sub_f32_e32 v8, v9, v8
	v_add_f32_e32 v4, v9, v4
	v_sub_f32_e32 v5, v5, v45
	v_dual_add_f32 v9, v13, v14 :: v_dual_mul_f32 v14, 0x3f4a47b2, v31
	v_dual_add_f32 v32, v3, v0 :: v_dual_sub_f32 v11, v13, v11
	v_sub_f32_e32 v3, v2, v3
	v_sub_f32_e32 v13, v0, v2
	v_dual_add_f32 v0, v28, v4 :: v_dual_add_f32 v1, v5, v10
	v_sub_f32_e32 v33, v5, v10
	v_dual_sub_f32 v5, v7, v5 :: v_dual_add_f32 v2, v32, v2
	v_mul_f32_e32 v32, 0x3f08b237, v34
	v_mul_f32_e32 v28, 0x3d64c772, v8
	v_sub_f32_e32 v10, v10, v7
	v_mul_f32_e32 v34, 0xbf5ff5aa, v13
	v_fmamk_f32 v4, v4, 0xbf955555, v0
	v_fmamk_f32 v8, v8, 0x3d64c772, v14
	v_fma_f32 v28, 0x3f3bfb3b, v15, -v28
	v_add_f32_e32 v7, v1, v7
	v_fma_f32 v14, 0xbf3bfb3b, v15, -v14
	v_add_f32_e32 v1, v29, v9
	v_mul_f32_e32 v29, 0x3d64c772, v11
	v_fma_f32 v13, 0xbf5ff5aa, v13, -v32
	s_delay_alu instid0(VALU_DEP_4) | instskip(NEXT) | instid1(VALU_DEP_3)
	v_add_f32_e32 v14, v14, v4
	v_fma_f32 v29, 0x3f3bfb3b, v30, -v29
	s_delay_alu instid0(VALU_DEP_3) | instskip(SKIP_4) | instid1(VALU_DEP_2)
	v_fmac_f32_e32 v13, 0xbee1c552, v2
	v_fmamk_f32 v11, v11, 0x3d64c772, v6
	v_fma_f32 v6, 0xbf3bfb3b, v30, -v6
	v_fmamk_f32 v30, v3, 0xbeae86e6, v32
	v_fma_f32 v32, 0x3eae86e6, v3, -v34
	v_fmac_f32_e32 v30, 0xbee1c552, v2
	s_delay_alu instid0(VALU_DEP_2) | instskip(SKIP_2) | instid1(VALU_DEP_2)
	v_fmac_f32_e32 v32, 0xbee1c552, v2
	v_mul_f32_e32 v31, 0x3f08b237, v33
	v_mul_f32_e32 v33, 0xbf5ff5aa, v10
	v_fmamk_f32 v15, v5, 0xbeae86e6, v31
	v_fma_f32 v10, 0xbf5ff5aa, v10, -v31
	s_delay_alu instid0(VALU_DEP_3) | instskip(SKIP_4) | instid1(VALU_DEP_4)
	v_fma_f32 v31, 0x3eae86e6, v5, -v33
	v_add_f32_e32 v33, v8, v4
	v_dual_fmamk_f32 v9, v9, 0xbf955555, v1 :: v_dual_add_f32 v8, v28, v4
	v_fmac_f32_e32 v15, 0xbee1c552, v7
	v_fmac_f32_e32 v10, 0xbee1c552, v7
	v_add_f32_e32 v2, v30, v33
	s_delay_alu instid0(VALU_DEP_4)
	v_add_f32_e32 v28, v6, v9
	v_sub_f32_e32 v6, v8, v13
	v_add_f32_e32 v8, v13, v8
	v_add_f32_e32 v34, v11, v9
	;; [unrolled: 1-line block ×3, first 2 shown]
	v_dual_fmac_f32 v31, 0xbee1c552, v7 :: v_dual_add_f32 v4, v32, v14
	v_sub_f32_e32 v13, v33, v30
	s_delay_alu instid0(VALU_DEP_4) | instskip(NEXT) | instid1(VALU_DEP_4)
	v_sub_f32_e32 v3, v34, v15
	v_add_f32_e32 v7, v10, v11
	s_delay_alu instid0(VALU_DEP_4)
	v_sub_f32_e32 v5, v28, v31
	v_dual_sub_f32 v9, v11, v10 :: v_dual_sub_f32 v10, v14, v32
	v_add_f32_e32 v11, v31, v28
	v_add_f32_e32 v14, v15, v34
	ds_store_2addr_b64 v44, v[0:1], v[2:3] offset1:8
	ds_store_2addr_b64 v44, v[4:5], v[6:7] offset0:16 offset1:24
	ds_store_2addr_b64 v44, v[8:9], v[10:11] offset0:32 offset1:40
	ds_store_b64 v44, v[13:14] offset:384
	s_waitcnt lgkmcnt(0)
	s_barrier
	buffer_gl0_inv
	ds_load_2addr_b64 v[0:3], v42 offset1:56
	ds_load_2addr_b64 v[4:7], v42 offset0:112 offset1:168
	ds_load_2addr_b64 v[8:11], v12 offset0:96 offset1:152
	ds_load_b64 v[13:14], v42 offset:2688
	s_waitcnt lgkmcnt(3)
	v_mul_f32_e32 v15, v25, v3
	v_mul_f32_e32 v25, v25, v2
	s_delay_alu instid0(VALU_DEP_2) | instskip(NEXT) | instid1(VALU_DEP_2)
	v_fmac_f32_e32 v15, v24, v2
	v_fma_f32 v2, v24, v3, -v25
	s_waitcnt lgkmcnt(2)
	v_mul_f32_e32 v3, v27, v5
	v_dual_mul_f32 v24, v27, v4 :: v_dual_mul_f32 v25, v21, v7
	v_mul_f32_e32 v21, v21, v6
	s_waitcnt lgkmcnt(1)
	v_mul_f32_e32 v27, v23, v9
	v_fmac_f32_e32 v3, v26, v4
	v_fma_f32 v4, v26, v5, -v24
	v_fmac_f32_e32 v25, v20, v6
	v_fma_f32 v5, v20, v7, -v21
	s_waitcnt lgkmcnt(0)
	v_dual_fmac_f32 v27, v22, v8 :: v_dual_mul_f32 v6, v19, v14
	v_mul_f32_e32 v7, v19, v13
	v_dual_mul_f32 v8, v23, v8 :: v_dual_mul_f32 v19, v17, v11
	s_delay_alu instid0(VALU_DEP_3) | instskip(NEXT) | instid1(VALU_DEP_3)
	v_dual_mul_f32 v17, v17, v10 :: v_dual_fmac_f32 v6, v18, v13
	v_fma_f32 v7, v18, v14, -v7
	s_delay_alu instid0(VALU_DEP_3) | instskip(NEXT) | instid1(VALU_DEP_3)
	v_fma_f32 v8, v22, v9, -v8
	v_fma_f32 v9, v16, v11, -v17
	s_delay_alu instid0(VALU_DEP_2) | instskip(SKIP_1) | instid1(VALU_DEP_3)
	v_dual_add_f32 v11, v2, v7 :: v_dual_add_f32 v14, v5, v8
	v_sub_f32_e32 v5, v8, v5
	v_add_f32_e32 v13, v4, v9
	v_sub_f32_e32 v4, v4, v9
	v_sub_f32_e32 v2, v2, v7
	s_delay_alu instid0(VALU_DEP_2) | instskip(NEXT) | instid1(VALU_DEP_2)
	v_add_f32_e32 v20, v5, v4
	v_dual_sub_f32 v22, v5, v4 :: v_dual_sub_f32 v5, v2, v5
	v_sub_f32_e32 v4, v4, v2
	s_delay_alu instid0(VALU_DEP_3) | instskip(SKIP_4) | instid1(VALU_DEP_4)
	v_add_f32_e32 v2, v20, v2
	v_fmac_f32_e32 v19, v16, v10
	v_add_f32_e32 v10, v15, v6
	v_sub_f32_e32 v6, v15, v6
	v_dual_mul_f32 v20, 0x3f08b237, v22 :: v_dual_sub_f32 v15, v27, v25
	v_add_f32_e32 v7, v3, v19
	v_dual_sub_f32 v3, v3, v19 :: v_dual_mul_f32 v22, 0xbf5ff5aa, v4
	s_delay_alu instid0(VALU_DEP_2) | instskip(NEXT) | instid1(VALU_DEP_2)
	v_add_f32_e32 v8, v7, v10
	v_add_f32_e32 v19, v15, v3
	v_sub_f32_e32 v21, v15, v3
	v_sub_f32_e32 v15, v6, v15
	;; [unrolled: 1-line block ×4, first 2 shown]
	v_dual_add_f32 v6, v19, v6 :: v_dual_add_f32 v9, v25, v27
	v_mul_f32_e32 v19, 0x3f08b237, v21
	s_delay_alu instid0(VALU_DEP_2) | instskip(NEXT) | instid1(VALU_DEP_1)
	v_dual_mul_f32 v21, 0xbf5ff5aa, v3 :: v_dual_add_f32 v8, v9, v8
	v_add_f32_e32 v0, v0, v8
	s_delay_alu instid0(VALU_DEP_1) | instskip(SKIP_1) | instid1(VALU_DEP_1)
	v_fmamk_f32 v8, v8, 0xbf955555, v0
	v_dual_sub_f32 v10, v10, v9 :: v_dual_sub_f32 v7, v9, v7
	v_mul_f32_e32 v10, 0x3f4a47b2, v10
	v_add_f32_e32 v16, v13, v11
	v_dual_sub_f32 v18, v13, v11 :: v_dual_sub_f32 v11, v11, v14
	v_sub_f32_e32 v13, v14, v13
	s_delay_alu instid0(VALU_DEP_3) | instskip(NEXT) | instid1(VALU_DEP_3)
	v_add_f32_e32 v9, v14, v16
	v_mul_f32_e32 v11, 0x3f4a47b2, v11
	s_delay_alu instid0(VALU_DEP_3) | instskip(NEXT) | instid1(VALU_DEP_3)
	v_mul_f32_e32 v16, 0x3d64c772, v13
	v_add_f32_e32 v1, v1, v9
	s_delay_alu instid0(VALU_DEP_3) | instskip(NEXT) | instid1(VALU_DEP_3)
	v_fmamk_f32 v13, v13, 0x3d64c772, v11
	v_fma_f32 v16, 0x3f3bfb3b, v18, -v16
	v_fma_f32 v11, 0xbf3bfb3b, v18, -v11
	v_fmamk_f32 v18, v5, 0xbeae86e6, v20
	v_fmamk_f32 v9, v9, 0xbf955555, v1
	v_fma_f32 v20, 0xbf5ff5aa, v4, -v20
	s_delay_alu instid0(VALU_DEP_3) | instskip(SKIP_1) | instid1(VALU_DEP_3)
	v_fmac_f32_e32 v18, 0xbee1c552, v2
	v_dual_mul_f32 v14, 0x3d64c772, v7 :: v_dual_fmamk_f32 v7, v7, 0x3d64c772, v10
	v_dual_add_f32 v23, v13, v9 :: v_dual_fmac_f32 v20, 0xbee1c552, v2
	v_add_f32_e32 v11, v11, v9
	s_delay_alu instid0(VALU_DEP_3) | instskip(NEXT) | instid1(VALU_DEP_1)
	v_fma_f32 v14, 0x3f3bfb3b, v17, -v14
	v_dual_add_f32 v13, v14, v8 :: v_dual_add_f32 v14, v16, v9
	v_fma_f32 v10, 0xbf3bfb3b, v17, -v10
	v_fmamk_f32 v17, v15, 0xbeae86e6, v19
	v_fma_f32 v15, 0x3eae86e6, v15, -v21
	v_fma_f32 v21, 0x3eae86e6, v5, -v22
	v_add_f32_e32 v22, v7, v8
	v_add_f32_e32 v10, v10, v8
	;; [unrolled: 1-line block ×3, first 2 shown]
	v_fma_f32 v19, 0xbf5ff5aa, v3, -v19
	v_fmac_f32_e32 v17, 0xbee1c552, v6
	v_fmac_f32_e32 v21, 0xbee1c552, v2
	;; [unrolled: 1-line block ×3, first 2 shown]
	v_add_f32_e32 v2, v18, v22
	v_fmac_f32_e32 v19, 0xbee1c552, v6
	s_delay_alu instid0(VALU_DEP_4) | instskip(NEXT) | instid1(VALU_DEP_4)
	v_dual_sub_f32 v3, v23, v17 :: v_dual_add_f32 v4, v21, v10
	v_dual_sub_f32 v10, v10, v21 :: v_dual_sub_f32 v5, v11, v15
	s_delay_alu instid0(VALU_DEP_3)
	v_dual_sub_f32 v6, v13, v20 :: v_dual_add_f32 v7, v19, v14
	v_sub_f32_e32 v9, v14, v19
	v_add_f32_e32 v11, v15, v11
	v_dual_sub_f32 v13, v22, v18 :: v_dual_add_f32 v14, v17, v23
	ds_store_2addr_b64 v42, v[0:1], v[2:3] offset1:56
	ds_store_2addr_b64 v42, v[4:5], v[6:7] offset0:112 offset1:168
	ds_store_2addr_b64 v12, v[8:9], v[10:11] offset0:96 offset1:152
	ds_store_b64 v42, v[13:14] offset:2688
	s_waitcnt lgkmcnt(0)
	s_barrier
	buffer_gl0_inv
	s_and_b32 exec_lo, exec_lo, vcc_lo
	s_cbranch_execz .LBB0_15
; %bb.14:
	s_clause 0x7
	global_load_b64 v[13:14], v42, s[12:13]
	global_load_b64 v[15:16], v42, s[12:13] offset:392
	global_load_b64 v[17:18], v42, s[12:13] offset:784
	;; [unrolled: 1-line block ×7, first 2 shown]
	ds_load_b64 v[29:30], v42
	ds_load_2addr_b64 v[0:3], v42 offset0:49 offset1:98
	ds_load_2addr_b64 v[4:7], v42 offset0:147 offset1:196
	;; [unrolled: 1-line block ×3, first 2 shown]
	ds_load_b64 v[31:32], v42 offset:2744
	s_mov_b32 s6, 0xa72f0539
	s_mov_b32 s7, 0x3f64e5e0
	s_waitcnt vmcnt(6) lgkmcnt(3)
	v_dual_mul_f32 v12, v30, v14 :: v_dual_mul_f32 v33, v1, v16
	v_mul_f32_e32 v14, v29, v14
	s_waitcnt vmcnt(4) lgkmcnt(2)
	v_dual_mul_f32 v34, v3, v18 :: v_dual_mul_f32 v35, v5, v20
	s_waitcnt vmcnt(2) lgkmcnt(1)
	v_dual_mul_f32 v18, v2, v18 :: v_dual_mul_f32 v37, v9, v24
	s_waitcnt vmcnt(0) lgkmcnt(0)
	v_mul_f32_e32 v39, v32, v28
	v_mul_f32_e32 v16, v0, v16
	;; [unrolled: 1-line block ×3, first 2 shown]
	v_dual_mul_f32 v36, v7, v22 :: v_dual_fmac_f32 v33, v0, v15
	v_dual_mul_f32 v22, v6, v22 :: v_dual_fmac_f32 v35, v4, v19
	v_mul_f32_e32 v24, v8, v24
	v_fmac_f32_e32 v12, v29, v13
	v_fma_f32 v13, v13, v30, -v14
	v_dual_mul_f32 v38, v11, v26 :: v_dual_fmac_f32 v37, v8, v23
	v_dual_mul_f32 v26, v10, v26 :: v_dual_fmac_f32 v39, v31, v27
	v_fma_f32 v14, v15, v1, -v16
	v_mul_f32_e32 v28, v31, v28
	v_fmac_f32_e32 v34, v2, v17
	v_fma_f32 v15, v17, v3, -v18
	v_fma_f32 v16, v19, v5, -v20
	v_fmac_f32_e32 v36, v6, v21
	v_fma_f32 v18, v21, v7, -v22
	v_fma_f32 v22, v23, v9, -v24
	v_cvt_f64_f32_e32 v[0:1], v12
	v_cvt_f64_f32_e32 v[2:3], v13
	v_fmac_f32_e32 v38, v10, v25
	v_fma_f32 v26, v25, v11, -v26
	v_cvt_f64_f32_e32 v[4:5], v33
	v_cvt_f64_f32_e32 v[6:7], v14
	v_fma_f32 v30, v27, v32, -v28
	v_cvt_f64_f32_e32 v[8:9], v34
	v_cvt_f64_f32_e32 v[10:11], v15
	;; [unrolled: 1-line block ×12, first 2 shown]
	v_mad_u64_u32 v[32:33], null, s2, v40, 0
	v_mad_u64_u32 v[34:35], null, s0, v41, 0
	s_mul_hi_u32 s2, s0, 0x188
	s_mulk_i32 s0, 0x188
	s_delay_alu instid0(VALU_DEP_1) | instskip(NEXT) | instid1(VALU_DEP_1)
	v_mad_u64_u32 v[36:37], null, s3, v40, v[33:34]
	v_mov_b32_e32 v33, v36
	v_mul_f64 v[0:1], v[0:1], s[6:7]
	v_mul_f64 v[2:3], v[2:3], s[6:7]
	v_mad_u64_u32 v[37:38], null, s1, v41, v[35:36]
	v_mul_f64 v[4:5], v[4:5], s[6:7]
	v_mul_f64 v[6:7], v[6:7], s[6:7]
	v_lshlrev_b64 v[32:33], 3, v[32:33]
	v_mul_f64 v[8:9], v[8:9], s[6:7]
	v_mul_f64 v[10:11], v[10:11], s[6:7]
	;; [unrolled: 1-line block ×12, first 2 shown]
	v_mov_b32_e32 v35, v37
	v_add_co_u32 v32, vcc_lo, s4, v32
	v_add_co_ci_u32_e32 v33, vcc_lo, s5, v33, vcc_lo
	s_delay_alu instid0(VALU_DEP_3) | instskip(SKIP_1) | instid1(SALU_CYCLE_1)
	v_lshlrev_b64 v[34:35], 3, v[34:35]
	s_mulk_i32 s1, 0x188
	s_add_i32 s2, s2, s1
	s_delay_alu instid0(VALU_DEP_1) | instskip(NEXT) | instid1(VALU_DEP_2)
	v_add_co_u32 v32, vcc_lo, v32, v34
	v_add_co_ci_u32_e32 v33, vcc_lo, v33, v35, vcc_lo
	v_cvt_f32_f64_e32 v0, v[0:1]
	v_cvt_f32_f64_e32 v1, v[2:3]
	v_cvt_f32_f64_e32 v2, v[4:5]
	v_cvt_f32_f64_e32 v3, v[6:7]
	v_cvt_f32_f64_e32 v4, v[8:9]
	v_cvt_f32_f64_e32 v5, v[10:11]
	v_cvt_f32_f64_e32 v6, v[12:13]
	v_cvt_f32_f64_e32 v7, v[14:15]
	v_cvt_f32_f64_e32 v8, v[16:17]
	v_cvt_f32_f64_e32 v9, v[18:19]
	v_cvt_f32_f64_e32 v10, v[20:21]
	v_cvt_f32_f64_e32 v11, v[22:23]
	v_cvt_f32_f64_e32 v12, v[24:25]
	v_cvt_f32_f64_e32 v13, v[26:27]
	v_add_co_u32 v16, vcc_lo, v32, s0
	v_cvt_f32_f64_e32 v14, v[28:29]
	v_cvt_f32_f64_e32 v15, v[30:31]
	v_add_co_ci_u32_e32 v17, vcc_lo, s2, v33, vcc_lo
	s_delay_alu instid0(VALU_DEP_4) | instskip(NEXT) | instid1(VALU_DEP_2)
	v_add_co_u32 v18, vcc_lo, v16, s0
	v_add_co_ci_u32_e32 v19, vcc_lo, s2, v17, vcc_lo
	s_delay_alu instid0(VALU_DEP_2) | instskip(NEXT) | instid1(VALU_DEP_2)
	v_add_co_u32 v20, vcc_lo, v18, s0
	v_add_co_ci_u32_e32 v21, vcc_lo, s2, v19, vcc_lo
	s_delay_alu instid0(VALU_DEP_2) | instskip(NEXT) | instid1(VALU_DEP_2)
	;; [unrolled: 3-line block ×5, first 2 shown]
	v_add_co_u32 v28, vcc_lo, v26, s0
	v_add_co_ci_u32_e32 v29, vcc_lo, s2, v27, vcc_lo
	s_clause 0x4
	global_store_b64 v[32:33], v[0:1], off
	global_store_b64 v[16:17], v[2:3], off
	;; [unrolled: 1-line block ×8, first 2 shown]
.LBB0_15:
	s_nop 0
	s_sendmsg sendmsg(MSG_DEALLOC_VGPRS)
	s_endpgm
	.section	.rodata,"a",@progbits
	.p2align	6, 0x0
	.amdhsa_kernel bluestein_single_fwd_len392_dim1_sp_op_CI_CI
		.amdhsa_group_segment_fixed_size 3136
		.amdhsa_private_segment_fixed_size 0
		.amdhsa_kernarg_size 104
		.amdhsa_user_sgpr_count 15
		.amdhsa_user_sgpr_dispatch_ptr 0
		.amdhsa_user_sgpr_queue_ptr 0
		.amdhsa_user_sgpr_kernarg_segment_ptr 1
		.amdhsa_user_sgpr_dispatch_id 0
		.amdhsa_user_sgpr_private_segment_size 0
		.amdhsa_wavefront_size32 1
		.amdhsa_uses_dynamic_stack 0
		.amdhsa_enable_private_segment 0
		.amdhsa_system_sgpr_workgroup_id_x 1
		.amdhsa_system_sgpr_workgroup_id_y 0
		.amdhsa_system_sgpr_workgroup_id_z 0
		.amdhsa_system_sgpr_workgroup_info 0
		.amdhsa_system_vgpr_workitem_id 0
		.amdhsa_next_free_vgpr 77
		.amdhsa_next_free_sgpr 16
		.amdhsa_reserve_vcc 1
		.amdhsa_float_round_mode_32 0
		.amdhsa_float_round_mode_16_64 0
		.amdhsa_float_denorm_mode_32 3
		.amdhsa_float_denorm_mode_16_64 3
		.amdhsa_dx10_clamp 1
		.amdhsa_ieee_mode 1
		.amdhsa_fp16_overflow 0
		.amdhsa_workgroup_processor_mode 1
		.amdhsa_memory_ordered 1
		.amdhsa_forward_progress 0
		.amdhsa_shared_vgpr_count 0
		.amdhsa_exception_fp_ieee_invalid_op 0
		.amdhsa_exception_fp_denorm_src 0
		.amdhsa_exception_fp_ieee_div_zero 0
		.amdhsa_exception_fp_ieee_overflow 0
		.amdhsa_exception_fp_ieee_underflow 0
		.amdhsa_exception_fp_ieee_inexact 0
		.amdhsa_exception_int_div_zero 0
	.end_amdhsa_kernel
	.text
.Lfunc_end0:
	.size	bluestein_single_fwd_len392_dim1_sp_op_CI_CI, .Lfunc_end0-bluestein_single_fwd_len392_dim1_sp_op_CI_CI
                                        ; -- End function
	.section	.AMDGPU.csdata,"",@progbits
; Kernel info:
; codeLenInByte = 6092
; NumSgprs: 18
; NumVgprs: 77
; ScratchSize: 0
; MemoryBound: 0
; FloatMode: 240
; IeeeMode: 1
; LDSByteSize: 3136 bytes/workgroup (compile time only)
; SGPRBlocks: 2
; VGPRBlocks: 9
; NumSGPRsForWavesPerEU: 18
; NumVGPRsForWavesPerEU: 77
; Occupancy: 16
; WaveLimiterHint : 1
; COMPUTE_PGM_RSRC2:SCRATCH_EN: 0
; COMPUTE_PGM_RSRC2:USER_SGPR: 15
; COMPUTE_PGM_RSRC2:TRAP_HANDLER: 0
; COMPUTE_PGM_RSRC2:TGID_X_EN: 1
; COMPUTE_PGM_RSRC2:TGID_Y_EN: 0
; COMPUTE_PGM_RSRC2:TGID_Z_EN: 0
; COMPUTE_PGM_RSRC2:TIDIG_COMP_CNT: 0
	.text
	.p2alignl 7, 3214868480
	.fill 96, 4, 3214868480
	.type	__hip_cuid_d288af179264c5f9,@object ; @__hip_cuid_d288af179264c5f9
	.section	.bss,"aw",@nobits
	.globl	__hip_cuid_d288af179264c5f9
__hip_cuid_d288af179264c5f9:
	.byte	0                               ; 0x0
	.size	__hip_cuid_d288af179264c5f9, 1

	.ident	"AMD clang version 19.0.0git (https://github.com/RadeonOpenCompute/llvm-project roc-6.4.0 25133 c7fe45cf4b819c5991fe208aaa96edf142730f1d)"
	.section	".note.GNU-stack","",@progbits
	.addrsig
	.addrsig_sym __hip_cuid_d288af179264c5f9
	.amdgpu_metadata
---
amdhsa.kernels:
  - .args:
      - .actual_access:  read_only
        .address_space:  global
        .offset:         0
        .size:           8
        .value_kind:     global_buffer
      - .actual_access:  read_only
        .address_space:  global
        .offset:         8
        .size:           8
        .value_kind:     global_buffer
      - .actual_access:  read_only
        .address_space:  global
        .offset:         16
        .size:           8
        .value_kind:     global_buffer
      - .actual_access:  read_only
        .address_space:  global
        .offset:         24
        .size:           8
        .value_kind:     global_buffer
      - .actual_access:  read_only
        .address_space:  global
        .offset:         32
        .size:           8
        .value_kind:     global_buffer
      - .offset:         40
        .size:           8
        .value_kind:     by_value
      - .address_space:  global
        .offset:         48
        .size:           8
        .value_kind:     global_buffer
      - .address_space:  global
        .offset:         56
        .size:           8
        .value_kind:     global_buffer
      - .address_space:  global
        .offset:         64
        .size:           8
        .value_kind:     global_buffer
      - .address_space:  global
        .offset:         72
        .size:           8
        .value_kind:     global_buffer
      - .offset:         80
        .size:           4
        .value_kind:     by_value
      - .address_space:  global
        .offset:         88
        .size:           8
        .value_kind:     global_buffer
      - .address_space:  global
        .offset:         96
        .size:           8
        .value_kind:     global_buffer
    .group_segment_fixed_size: 3136
    .kernarg_segment_align: 8
    .kernarg_segment_size: 104
    .language:       OpenCL C
    .language_version:
      - 2
      - 0
    .max_flat_workgroup_size: 56
    .name:           bluestein_single_fwd_len392_dim1_sp_op_CI_CI
    .private_segment_fixed_size: 0
    .sgpr_count:     18
    .sgpr_spill_count: 0
    .symbol:         bluestein_single_fwd_len392_dim1_sp_op_CI_CI.kd
    .uniform_work_group_size: 1
    .uses_dynamic_stack: false
    .vgpr_count:     77
    .vgpr_spill_count: 0
    .wavefront_size: 32
    .workgroup_processor_mode: 1
amdhsa.target:   amdgcn-amd-amdhsa--gfx1100
amdhsa.version:
  - 1
  - 2
...

	.end_amdgpu_metadata
